;; amdgpu-corpus repo=ROCm/rocFFT kind=compiled arch=gfx906 opt=O3
	.text
	.amdgcn_target "amdgcn-amd-amdhsa--gfx906"
	.amdhsa_code_object_version 6
	.protected	bluestein_single_back_len525_dim1_sp_op_CI_CI ; -- Begin function bluestein_single_back_len525_dim1_sp_op_CI_CI
	.globl	bluestein_single_back_len525_dim1_sp_op_CI_CI
	.p2align	8
	.type	bluestein_single_back_len525_dim1_sp_op_CI_CI,@function
bluestein_single_back_len525_dim1_sp_op_CI_CI: ; @bluestein_single_back_len525_dim1_sp_op_CI_CI
; %bb.0:
	s_load_dwordx4 s[0:3], s[4:5], 0x28
	v_mul_u32_u24_e32 v1, 0x271, v0
	v_add_u32_sdwa v36, s6, v1 dst_sel:DWORD dst_unused:UNUSED_PAD src0_sel:DWORD src1_sel:WORD_1
	v_mov_b32_e32 v37, 0
	s_waitcnt lgkmcnt(0)
	v_cmp_gt_u64_e32 vcc, s[0:1], v[36:37]
	s_and_saveexec_b64 s[0:1], vcc
	s_cbranch_execz .LBB0_23
; %bb.1:
	s_load_dwordx2 s[10:11], s[4:5], 0x0
	s_load_dwordx2 s[8:9], s[4:5], 0x38
	s_movk_i32 s0, 0x69
	v_mul_lo_u16_sdwa v1, v1, s0 dst_sel:DWORD dst_unused:UNUSED_PAD src0_sel:WORD_1 src1_sel:DWORD
	v_sub_u16_e32 v39, v0, v1
	s_movk_i32 s0, 0x4b
	v_cmp_gt_u16_e64 s[0:1], s0, v39
	v_lshlrev_b32_e32 v40, 3, v39
	s_and_saveexec_b64 s[6:7], s[0:1]
	s_cbranch_execz .LBB0_3
; %bb.2:
	s_load_dwordx2 s[12:13], s[4:5], 0x18
	v_add_u32_e32 v30, 0x800, v40
	s_waitcnt lgkmcnt(0)
	s_load_dwordx4 s[12:15], s[12:13], 0x0
	s_waitcnt lgkmcnt(0)
	v_mad_u64_u32 v[0:1], s[16:17], s14, v36, 0
	v_mad_u64_u32 v[2:3], s[16:17], s12, v39, 0
	;; [unrolled: 1-line block ×4, first 2 shown]
	v_mov_b32_e32 v1, v4
	v_lshlrev_b64 v[0:1], 3, v[0:1]
	v_mov_b32_e32 v3, v5
	v_mov_b32_e32 v6, s3
	v_lshlrev_b64 v[2:3], 3, v[2:3]
	v_add_co_u32_e32 v0, vcc, s2, v0
	v_addc_co_u32_e32 v1, vcc, v6, v1, vcc
	v_add_co_u32_e32 v0, vcc, v0, v2
	s_mul_i32 s2, s13, 0x258
	s_mul_hi_u32 s3, s12, 0x258
	v_addc_co_u32_e32 v1, vcc, v1, v3, vcc
	s_add_i32 s2, s3, s2
	s_mul_i32 s3, s12, 0x258
	v_mov_b32_e32 v3, s2
	v_add_co_u32_e32 v2, vcc, s3, v0
	v_addc_co_u32_e32 v3, vcc, v1, v3, vcc
	global_load_dwordx2 v[4:5], v[0:1], off
	global_load_dwordx2 v[6:7], v[2:3], off
	global_load_dwordx2 v[8:9], v40, s[10:11]
	global_load_dwordx2 v[10:11], v40, s[10:11] offset:600
	global_load_dwordx2 v[12:13], v40, s[10:11] offset:1200
	;; [unrolled: 1-line block ×3, first 2 shown]
	v_mov_b32_e32 v1, s2
	v_add_co_u32_e32 v0, vcc, s3, v2
	v_addc_co_u32_e32 v1, vcc, v3, v1, vcc
	v_mov_b32_e32 v16, s2
	v_add_co_u32_e32 v2, vcc, s3, v0
	v_addc_co_u32_e32 v3, vcc, v1, v16, vcc
	v_mov_b32_e32 v20, s2
	global_load_dwordx2 v[16:17], v[0:1], off
	global_load_dwordx2 v[18:19], v[2:3], off
	v_add_co_u32_e32 v0, vcc, s3, v2
	v_addc_co_u32_e32 v1, vcc, v3, v20, vcc
	v_mov_b32_e32 v22, s2
	global_load_dwordx2 v[2:3], v[0:1], off
	global_load_dwordx2 v[20:21], v40, s[10:11] offset:2400
	v_add_co_u32_e32 v0, vcc, s3, v0
	v_addc_co_u32_e32 v1, vcc, v1, v22, vcc
	v_mov_b32_e32 v26, s2
	global_load_dwordx2 v[22:23], v[0:1], off
	global_load_dwordx2 v[24:25], v40, s[10:11] offset:3000
	v_add_co_u32_e32 v0, vcc, s3, v0
	v_addc_co_u32_e32 v1, vcc, v1, v26, vcc
	global_load_dwordx2 v[26:27], v40, s[10:11] offset:3600
	global_load_dwordx2 v[28:29], v[0:1], off
	s_waitcnt vmcnt(11)
	v_mul_f32_e32 v1, v4, v9
	v_mul_f32_e32 v0, v5, v9
	v_fma_f32 v1, v5, v8, -v1
	v_fmac_f32_e32 v0, v4, v8
	s_waitcnt vmcnt(10)
	v_mul_f32_e32 v5, v6, v11
	v_mul_f32_e32 v4, v7, v11
	v_fma_f32 v5, v7, v10, -v5
	v_fmac_f32_e32 v4, v6, v10
	ds_write2_b64 v40, v[0:1], v[4:5] offset1:75
	s_waitcnt vmcnt(7)
	v_mul_f32_e32 v6, v17, v13
	v_mul_f32_e32 v7, v16, v13
	s_waitcnt vmcnt(6)
	v_mul_f32_e32 v0, v19, v15
	v_mul_f32_e32 v1, v18, v15
	v_fmac_f32_e32 v6, v16, v12
	v_fma_f32 v7, v17, v12, -v7
	v_fmac_f32_e32 v0, v18, v14
	v_fma_f32 v1, v19, v14, -v1
	s_waitcnt vmcnt(4)
	v_mul_f32_e32 v4, v3, v21
	v_mul_f32_e32 v5, v2, v21
	ds_write2_b64 v40, v[6:7], v[0:1] offset0:150 offset1:225
	v_fmac_f32_e32 v4, v2, v20
	v_fma_f32 v5, v3, v20, -v5
	s_waitcnt vmcnt(2)
	v_mul_f32_e32 v0, v23, v25
	v_mul_f32_e32 v1, v22, v25
	v_fmac_f32_e32 v0, v22, v24
	v_fma_f32 v1, v23, v24, -v1
	ds_write2_b64 v30, v[4:5], v[0:1] offset0:44 offset1:119
	s_waitcnt vmcnt(0)
	v_mul_f32_e32 v2, v29, v27
	v_mul_f32_e32 v3, v28, v27
	v_fmac_f32_e32 v2, v28, v26
	v_fma_f32 v3, v29, v26, -v3
	ds_write_b64 v40, v[2:3] offset:3600
.LBB0_3:
	s_or_b64 exec, exec, s[6:7]
	v_mov_b32_e32 v2, 0
	v_mov_b32_e32 v3, 0
	;; [unrolled: 1-line block ×8, first 2 shown]
	s_waitcnt lgkmcnt(0)
	s_barrier
	s_waitcnt lgkmcnt(0)
                                        ; implicit-def: $vgpr12
	s_and_saveexec_b64 s[2:3], s[0:1]
	s_cbranch_execz .LBB0_5
; %bb.4:
	v_add_u32_e32 v8, 0x800, v40
	ds_read2_b64 v[0:3], v40 offset1:75
	ds_read2_b64 v[4:7], v40 offset0:150 offset1:225
	ds_read2_b64 v[8:11], v8 offset0:44 offset1:119
	ds_read_b64 v[12:13], v40 offset:3600
.LBB0_5:
	s_or_b64 exec, exec, s[2:3]
	s_waitcnt lgkmcnt(0)
	v_add_f32_e32 v14, v12, v2
	v_add_f32_e32 v15, v13, v3
	v_sub_f32_e32 v2, v2, v12
	v_sub_f32_e32 v3, v3, v13
	v_add_f32_e32 v12, v10, v4
	v_add_f32_e32 v13, v11, v5
	v_sub_f32_e32 v4, v4, v10
	v_sub_f32_e32 v5, v5, v11
	;; [unrolled: 4-line block ×3, first 2 shown]
	v_add_f32_e32 v8, v14, v12
	v_add_f32_e32 v9, v15, v13
	;; [unrolled: 1-line block ×4, first 2 shown]
	v_sub_f32_e32 v16, v12, v14
	v_sub_f32_e32 v17, v13, v15
	;; [unrolled: 1-line block ×4, first 2 shown]
	v_add_f32_e32 v0, v8, v0
	v_add_f32_e32 v1, v9, v1
	v_sub_f32_e32 v14, v14, v10
	v_sub_f32_e32 v15, v15, v11
	v_add_f32_e32 v18, v4, v6
	v_add_f32_e32 v19, v5, v7
	v_sub_f32_e32 v20, v6, v4
	v_sub_f32_e32 v21, v7, v5
	v_mul_f32_e32 v12, 0x3d64c772, v12
	v_mul_f32_e32 v13, 0x3d64c772, v13
	v_mov_b32_e32 v22, v0
	v_mov_b32_e32 v23, v1
	s_mov_b32 s3, 0x3f3bfb3b
	s_load_dwordx2 s[6:7], s[4:5], 0x20
	s_load_dwordx2 s[12:13], s[4:5], 0x8
	v_sub_f32_e32 v6, v2, v6
	v_sub_f32_e32 v7, v3, v7
	;; [unrolled: 1-line block ×4, first 2 shown]
	v_add_f32_e32 v10, v2, v18
	v_add_f32_e32 v11, v3, v19
	v_mul_f32_e32 v18, 0x3f4a47b2, v14
	v_mul_f32_e32 v19, 0x3f4a47b2, v15
	;; [unrolled: 1-line block ×4, first 2 shown]
	s_mov_b32 s2, 0x3f5ff5aa
	v_fmac_f32_e32 v22, 0xbf955555, v8
	v_fmac_f32_e32 v23, 0xbf955555, v9
	v_fma_f32 v8, v16, s3, -v12
	v_fma_f32 v9, v17, s3, -v13
	s_mov_b32 s3, 0xbf3bfb3b
	v_mul_f32_e32 v20, 0x3f5ff5aa, v4
	v_mul_f32_e32 v21, 0x3f5ff5aa, v5
	v_fmac_f32_e32 v12, 0x3f4a47b2, v14
	v_fmac_f32_e32 v13, 0x3f4a47b2, v15
	v_fma_f32 v14, v16, s3, -v18
	v_fma_f32 v15, v17, s3, -v19
	;; [unrolled: 1-line block ×4, first 2 shown]
	s_mov_b32 s2, 0xbeae86e6
	v_fmac_f32_e32 v2, 0x3eae86e6, v6
	v_fmac_f32_e32 v3, 0x3eae86e6, v7
	v_fma_f32 v5, v6, s2, -v20
	v_fma_f32 v6, v7, s2, -v21
	v_add_f32_e32 v4, v12, v22
	v_add_f32_e32 v7, v13, v23
	;; [unrolled: 1-line block ×6, first 2 shown]
	v_fmac_f32_e32 v2, 0x3ee1c552, v10
	v_fmac_f32_e32 v3, 0x3ee1c552, v11
	;; [unrolled: 1-line block ×6, first 2 shown]
	v_sub_f32_e32 v12, v18, v16
	v_add_f32_e32 v13, v17, v19
	v_add_f32_e32 v16, v18, v16
	v_sub_f32_e32 v17, v19, v17
	v_sub_f32_e32 v14, v8, v6
	v_add_f32_e32 v15, v5, v9
	v_sub_f32_e32 v37, v4, v3
	v_add_f32_e32 v38, v2, v7
	v_mul_lo_u16_e32 v42, 7, v39
	s_waitcnt lgkmcnt(0)
	s_barrier
	s_and_saveexec_b64 s[2:3], s[0:1]
	s_cbranch_execz .LBB0_7
; %bb.6:
	v_sub_f32_e32 v9, v9, v5
	v_sub_f32_e32 v5, v7, v2
	v_add_f32_e32 v4, v4, v3
	v_lshlrev_b32_e32 v2, 3, v42
	v_add_f32_e32 v8, v8, v6
	ds_write2_b64 v2, v[0:1], v[4:5] offset1:1
	ds_write2_b64 v2, v[8:9], v[12:13] offset0:2 offset1:3
	ds_write2_b64 v2, v[16:17], v[14:15] offset0:4 offset1:5
	ds_write_b64 v2, v[37:38] offset:48
.LBB0_7:
	s_or_b64 exec, exec, s[2:3]
	s_waitcnt lgkmcnt(0)
	s_barrier
	ds_read2_b64 v[8:11], v40 offset1:175
	ds_read_b64 v[18:19], v40 offset:2800
	s_movk_i32 s2, 0x46
	v_cmp_gt_u16_e64 s[2:3], s2, v39
	s_and_saveexec_b64 s[4:5], s[2:3]
	s_cbranch_execz .LBB0_9
; %bb.8:
	v_add_u32_e32 v0, 0x200, v40
	ds_read2_b64 v[0:3], v0 offset0:41 offset1:216
	ds_read_b64 v[14:15], v40 offset:3640
	s_waitcnt lgkmcnt(1)
	v_mov_b32_e32 v12, v0
	v_mov_b32_e32 v13, v1
	;; [unrolled: 1-line block ×4, first 2 shown]
.LBB0_9:
	s_or_b64 exec, exec, s[4:5]
	v_mov_b32_e32 v0, 37
	v_mul_lo_u16_sdwa v1, v39, v0 dst_sel:DWORD dst_unused:UNUSED_PAD src0_sel:BYTE_0 src1_sel:DWORD
	v_sub_u16_sdwa v2, v39, v1 dst_sel:DWORD dst_unused:UNUSED_PAD src0_sel:DWORD src1_sel:BYTE_1
	v_lshrrev_b16_e32 v2, 1, v2
	v_and_b32_e32 v2, 0x7f, v2
	v_add_u16_sdwa v1, v2, v1 dst_sel:DWORD dst_unused:UNUSED_PAD src0_sel:DWORD src1_sel:BYTE_1
	v_add_u16_e32 v2, 0x69, v39
	v_mul_lo_u16_sdwa v0, v2, v0 dst_sel:DWORD dst_unused:UNUSED_PAD src0_sel:BYTE_0 src1_sel:DWORD
	v_sub_u16_sdwa v3, v2, v0 dst_sel:DWORD dst_unused:UNUSED_PAD src0_sel:DWORD src1_sel:BYTE_1
	v_lshrrev_b16_e32 v3, 1, v3
	v_and_b32_e32 v3, 0x7f, v3
	v_add_u16_sdwa v0, v3, v0 dst_sel:DWORD dst_unused:UNUSED_PAD src0_sel:DWORD src1_sel:BYTE_1
	v_lshrrev_b16_e32 v20, 2, v1
	v_lshrrev_b16_e32 v24, 2, v0
	v_mul_lo_u16_e32 v1, 7, v20
	v_mul_lo_u16_e32 v0, 7, v24
	v_sub_u16_e32 v1, v39, v1
	v_sub_u16_e32 v0, v2, v0
	v_and_b32_e32 v21, 0xff, v1
	v_and_b32_e32 v41, 0xff, v0
	v_lshlrev_b32_e32 v1, 4, v21
	v_lshlrev_b32_e32 v0, 4, v41
	global_load_dwordx4 v[4:7], v1, s[12:13]
	v_mul_u32_u24_e32 v20, 21, v20
	global_load_dwordx4 v[0:3], v0, s[12:13]
	v_add_lshl_u32 v43, v20, v21, 3
	s_load_dwordx4 s[4:7], s[6:7], 0x0
	s_movk_i32 s16, 0x69
	v_mul_u32_u24_e32 v44, 21, v24
	s_waitcnt vmcnt(0) lgkmcnt(0)
	s_barrier
	v_mul_f32_e32 v22, v11, v5
	v_mul_f32_e32 v23, v19, v7
	;; [unrolled: 1-line block ×8, first 2 shown]
	v_fma_f32 v18, v18, v6, -v23
	v_fmac_f32_e32 v25, v19, v6
	v_fma_f32 v19, v10, v4, -v22
	v_fmac_f32_e32 v26, v11, v4
	;; [unrolled: 2-line block ×4, first 2 shown]
	v_add_f32_e32 v16, v19, v18
	v_add_f32_e32 v17, v26, v25
	;; [unrolled: 1-line block ×3, first 2 shown]
	v_sub_f32_e32 v28, v26, v25
	v_add_f32_e32 v26, v10, v11
	v_add_f32_e32 v27, v20, v21
	;; [unrolled: 1-line block ×3, first 2 shown]
	v_fma_f32 v16, -0.5, v16, v8
	v_fma_f32 v17, -0.5, v17, v9
	;; [unrolled: 1-line block ×4, first 2 shown]
	v_sub_f32_e32 v29, v19, v18
	v_sub_f32_e32 v14, v20, v21
	;; [unrolled: 1-line block ×3, first 2 shown]
	v_mov_b32_e32 v26, v8
	v_mov_b32_e32 v27, v9
	v_add_f32_e32 v18, v22, v18
	v_add_f32_e32 v19, v23, v25
	v_mov_b32_e32 v22, v16
	v_fmac_f32_e32 v16, 0xbf5db3d7, v28
	v_mov_b32_e32 v23, v17
	v_fmac_f32_e32 v17, 0x3f5db3d7, v29
	v_fmac_f32_e32 v26, 0xbf5db3d7, v14
	;; [unrolled: 1-line block ×5, first 2 shown]
	ds_write_b64 v43, v[16:17] offset:112
	ds_write2_b64 v43, v[18:19], v[22:23] offset1:7
	s_and_saveexec_b64 s[14:15], s[2:3]
	s_cbranch_execz .LBB0_11
; %bb.10:
	v_mul_f32_e32 v14, 0x3f5db3d7, v14
	v_mul_f32_e32 v15, 0x3f5db3d7, v15
	v_add_f32_e32 v13, v13, v20
	v_add_f32_e32 v10, v12, v10
	v_sub_f32_e32 v9, v9, v15
	v_add_f32_e32 v8, v14, v8
	v_add_f32_e32 v13, v13, v21
	;; [unrolled: 1-line block ×3, first 2 shown]
	v_add_lshl_u32 v10, v44, v41, 3
	ds_write2_b64 v10, v[12:13], v[8:9] offset1:7
	ds_write_b64 v10, v[26:27] offset:112
.LBB0_11:
	s_or_b64 exec, exec, s[14:15]
	s_movk_i32 s14, 0x87
	v_mul_lo_u16_sdwa v8, v39, s14 dst_sel:DWORD dst_unused:UNUSED_PAD src0_sel:BYTE_0 src1_sel:DWORD
	v_sub_u16_sdwa v9, v39, v8 dst_sel:DWORD dst_unused:UNUSED_PAD src0_sel:DWORD src1_sel:BYTE_1
	v_lshrrev_b16_e32 v9, 1, v9
	v_and_b32_e32 v9, 0x7f, v9
	v_add_u16_sdwa v8, v9, v8 dst_sel:DWORD dst_unused:UNUSED_PAD src0_sel:DWORD src1_sel:BYTE_1
	v_lshrrev_b16_e32 v8, 4, v8
	v_and_b32_e32 v28, 15, v8
	v_mul_lo_u16_e32 v8, 21, v28
	v_sub_u16_e32 v8, v39, v8
	v_and_b32_e32 v29, 0xff, v8
	v_lshlrev_b32_e32 v16, 5, v29
	s_waitcnt lgkmcnt(0)
	s_barrier
	global_load_dwordx4 v[12:15], v16, s[12:13] offset:112
	global_load_dwordx4 v[8:11], v16, s[12:13] offset:128
	v_add_u32_e32 v46, 0x800, v40
	ds_read2_b64 v[16:19], v40 offset0:105 offset1:210
	ds_read_b64 v[24:25], v40
	ds_read2_b64 v[20:23], v46 offset0:59 offset1:164
	v_mul_u32_u24_sdwa v28, v28, s16 dst_sel:DWORD dst_unused:UNUSED_PAD src0_sel:WORD_0 src1_sel:DWORD
	s_waitcnt vmcnt(0) lgkmcnt(0)
	s_barrier
	v_mul_f32_e32 v30, v17, v13
	v_mul_f32_e32 v31, v16, v13
	;; [unrolled: 1-line block ×8, first 2 shown]
	v_fma_f32 v16, v16, v12, -v30
	v_fmac_f32_e32 v31, v17, v12
	v_fma_f32 v17, v18, v14, -v32
	v_fmac_f32_e32 v33, v19, v14
	;; [unrolled: 2-line block ×4, first 2 shown]
	v_add_f32_e32 v19, v24, v16
	v_add_f32_e32 v20, v17, v18
	v_add_f32_e32 v51, v33, v35
	v_sub_f32_e32 v21, v16, v17
	v_sub_f32_e32 v23, v22, v18
	;; [unrolled: 1-line block ×4, first 2 shown]
	v_add_f32_e32 v45, v16, v22
	v_sub_f32_e32 v48, v16, v22
	v_add_f32_e32 v49, v25, v31
	v_sub_f32_e32 v52, v31, v33
	v_sub_f32_e32 v53, v33, v31
	;; [unrolled: 1-line block ×3, first 2 shown]
	v_add_f32_e32 v31, v31, v47
	v_add_f32_e32 v19, v19, v17
	v_fma_f32 v16, -0.5, v20, v24
	v_fma_f32 v17, -0.5, v51, v25
	v_sub_f32_e32 v34, v18, v22
	v_sub_f32_e32 v50, v33, v35
	v_add_f32_e32 v57, v21, v23
	v_fma_f32 v24, -0.5, v45, v24
	v_add_f32_e32 v20, v49, v33
	v_fmac_f32_e32 v25, -0.5, v31
	v_add_f32_e32 v23, v19, v18
	v_mov_b32_e32 v18, v16
	v_mov_b32_e32 v19, v17
	v_sub_f32_e32 v55, v47, v35
	v_add_f32_e32 v30, v30, v34
	v_add_f32_e32 v34, v20, v35
	v_mov_b32_e32 v20, v24
	v_fmac_f32_e32 v24, 0x3f737871, v50
	v_mov_b32_e32 v21, v25
	v_fmac_f32_e32 v18, 0x3f737871, v54
	v_fmac_f32_e32 v19, 0xbf737871, v48
	v_sub_f32_e32 v56, v35, v47
	v_add_f32_e32 v33, v52, v55
	v_fmac_f32_e32 v16, 0xbf737871, v54
	v_fmac_f32_e32 v17, 0x3f737871, v48
	;; [unrolled: 1-line block ×8, first 2 shown]
	v_add_f32_e32 v31, v53, v56
	v_add_f32_e32 v22, v23, v22
	;; [unrolled: 1-line block ×3, first 2 shown]
	v_fmac_f32_e32 v16, 0xbf167918, v50
	v_fmac_f32_e32 v17, 0x3f167918, v32
	;; [unrolled: 1-line block ×8, first 2 shown]
	v_add_lshl_u32 v45, v28, v29, 3
	v_fmac_f32_e32 v16, 0x3e9e377a, v57
	v_fmac_f32_e32 v17, 0x3e9e377a, v33
	;; [unrolled: 1-line block ×5, first 2 shown]
	ds_write2_b64 v45, v[22:23], v[18:19] offset1:21
	ds_write2_b64 v45, v[20:21], v[24:25] offset0:42 offset1:63
	ds_write_b64 v45, v[16:17] offset:672
	v_lshlrev_b32_e32 v24, 5, v39
	s_waitcnt lgkmcnt(0)
	s_barrier
	global_load_dwordx4 v[20:23], v24, s[12:13] offset:784
	global_load_dwordx4 v[16:19], v24, s[12:13] offset:800
	ds_read2_b64 v[32:35], v40 offset0:105 offset1:210
	ds_read2_b64 v[47:50], v46 offset0:59 offset1:164
	ds_read_b64 v[30:31], v40
	s_waitcnt vmcnt(1) lgkmcnt(2)
	v_mul_f32_e32 v24, v33, v21
	v_mul_f32_e32 v25, v32, v21
	;; [unrolled: 1-line block ×4, first 2 shown]
	s_waitcnt vmcnt(0) lgkmcnt(1)
	v_mul_f32_e32 v51, v48, v17
	v_mul_f32_e32 v52, v47, v17
	;; [unrolled: 1-line block ×4, first 2 shown]
	v_fma_f32 v24, v32, v20, -v24
	v_fmac_f32_e32 v25, v33, v20
	v_fma_f32 v28, v34, v22, -v28
	v_fmac_f32_e32 v29, v35, v22
	;; [unrolled: 2-line block ×4, first 2 shown]
	s_waitcnt lgkmcnt(0)
	v_add_f32_e32 v34, v30, v24
	v_add_f32_e32 v35, v28, v32
	v_sub_f32_e32 v47, v24, v28
	v_sub_f32_e32 v48, v28, v24
	v_add_f32_e32 v53, v24, v33
	v_sub_f32_e32 v55, v24, v33
	v_add_f32_e32 v24, v31, v25
	v_add_f32_e32 v57, v29, v52
	;; [unrolled: 1-line block ×3, first 2 shown]
	v_sub_f32_e32 v49, v28, v32
	v_sub_f32_e32 v56, v29, v52
	;; [unrolled: 1-line block ×5, first 2 shown]
	v_add_f32_e32 v28, v34, v28
	v_add_f32_e32 v29, v24, v29
	v_fma_f32 v24, -0.5, v35, v30
	v_fma_f32 v30, -0.5, v53, v30
	;; [unrolled: 1-line block ×3, first 2 shown]
	v_fmac_f32_e32 v31, -0.5, v61
	v_sub_f32_e32 v50, v33, v32
	v_sub_f32_e32 v51, v32, v33
	;; [unrolled: 1-line block ×4, first 2 shown]
	v_add_f32_e32 v32, v28, v32
	v_add_f32_e32 v52, v29, v52
	v_mov_b32_e32 v34, v24
	v_mov_b32_e32 v28, v30
	;; [unrolled: 1-line block ×4, first 2 shown]
	v_fmac_f32_e32 v24, 0xbf737871, v60
	v_fmac_f32_e32 v30, 0x3f737871, v56
	;; [unrolled: 1-line block ×8, first 2 shown]
	v_add_f32_e32 v47, v47, v50
	v_add_f32_e32 v48, v48, v51
	;; [unrolled: 1-line block ×4, first 2 shown]
	v_fmac_f32_e32 v24, 0xbf167918, v56
	v_fmac_f32_e32 v30, 0xbf167918, v60
	;; [unrolled: 1-line block ×8, first 2 shown]
	v_add_f32_e32 v32, v32, v33
	v_add_f32_e32 v33, v52, v54
	v_fmac_f32_e32 v24, 0x3e9e377a, v47
	v_fmac_f32_e32 v30, 0x3e9e377a, v48
	;; [unrolled: 1-line block ×8, first 2 shown]
	v_add_u32_e32 v47, 0x400, v40
	ds_write_b64 v40, v[32:33]
	ds_write_b64 v40, v[34:35] offset:840
	ds_write2_b64 v47, v[28:29], v[30:31] offset0:82 offset1:187
	ds_write_b64 v40, v[24:25] offset:3360
	s_waitcnt lgkmcnt(0)
	s_barrier
	s_and_saveexec_b64 s[12:13], s[0:1]
	s_cbranch_execz .LBB0_13
; %bb.12:
	v_add_co_u32_e32 v50, vcc, s10, v40
	v_mov_b32_e32 v48, s11
	v_addc_co_u32_e32 v51, vcc, 0, v48, vcc
	v_add_co_u32_e32 v52, vcc, 0x1068, v50
	v_addc_co_u32_e32 v53, vcc, 0, v51, vcc
	v_add_co_u32_e32 v50, vcc, 0x1000, v50
	v_addc_co_u32_e32 v51, vcc, 0, v51, vcc
	global_load_dwordx2 v[50:51], v[50:51], off offset:104
	ds_read_b64 v[48:49], v40
	s_waitcnt vmcnt(0) lgkmcnt(0)
	v_mul_f32_e32 v54, v49, v51
	v_mul_f32_e32 v55, v48, v51
	v_fma_f32 v54, v48, v50, -v54
	v_fmac_f32_e32 v55, v49, v50
	ds_write_b64 v40, v[54:55]
	global_load_dwordx2 v[54:55], v[52:53], off offset:600
	ds_read2_b64 v[48:51], v40 offset0:75 offset1:150
	s_waitcnt vmcnt(0) lgkmcnt(0)
	v_mul_f32_e32 v56, v49, v55
	v_mul_f32_e32 v57, v48, v55
	v_fma_f32 v56, v48, v54, -v56
	v_fmac_f32_e32 v57, v49, v54
	global_load_dwordx2 v[48:49], v[52:53], off offset:1200
	s_waitcnt vmcnt(0)
	v_mul_f32_e32 v54, v51, v49
	v_mul_f32_e32 v55, v50, v49
	v_fma_f32 v54, v50, v48, -v54
	v_fmac_f32_e32 v55, v51, v48
	ds_write2_b64 v40, v[56:57], v[54:55] offset0:75 offset1:150
	global_load_dwordx2 v[54:55], v[52:53], off offset:1800
	ds_read2_b64 v[48:51], v47 offset0:97 offset1:172
	s_waitcnt vmcnt(0) lgkmcnt(0)
	v_mul_f32_e32 v56, v49, v55
	v_mul_f32_e32 v57, v48, v55
	v_fma_f32 v56, v48, v54, -v56
	v_fmac_f32_e32 v57, v49, v54
	global_load_dwordx2 v[48:49], v[52:53], off offset:2400
	s_waitcnt vmcnt(0)
	v_mul_f32_e32 v54, v51, v49
	v_mul_f32_e32 v55, v50, v49
	v_fma_f32 v54, v50, v48, -v54
	v_fmac_f32_e32 v55, v51, v48
	ds_write2_b64 v47, v[56:57], v[54:55] offset0:97 offset1:172
	;; [unrolled: 14-line block ×3, first 2 shown]
.LBB0_13:
	s_or_b64 exec, exec, s[12:13]
	s_waitcnt lgkmcnt(0)
	s_barrier
	s_and_saveexec_b64 s[12:13], s[0:1]
	s_cbranch_execz .LBB0_15
; %bb.14:
	v_add_u32_e32 v24, 0x800, v40
	ds_read2_b64 v[32:35], v40 offset1:75
	ds_read2_b64 v[28:31], v40 offset0:150 offset1:225
	ds_read2_b64 v[24:27], v24 offset0:44 offset1:119
	ds_read_b64 v[37:38], v40 offset:3600
.LBB0_15:
	s_or_b64 exec, exec, s[12:13]
	s_waitcnt lgkmcnt(0)
	v_add_f32_e32 v46, v37, v34
	v_add_f32_e32 v47, v38, v35
	v_sub_f32_e32 v34, v34, v37
	v_sub_f32_e32 v35, v35, v38
	v_add_f32_e32 v37, v26, v28
	v_add_f32_e32 v38, v27, v29
	v_sub_f32_e32 v26, v28, v26
	v_sub_f32_e32 v27, v29, v27
	;; [unrolled: 4-line block ×4, first 2 shown]
	v_sub_f32_e32 v54, v29, v38
	v_add_f32_e32 v38, v24, v26
	v_add_f32_e32 v47, v25, v27
	v_sub_f32_e32 v55, v24, v26
	v_sub_f32_e32 v56, v25, v27
	;; [unrolled: 1-line block ×6, first 2 shown]
	v_add_f32_e32 v26, v28, v48
	v_add_f32_e32 v27, v29, v49
	v_sub_f32_e32 v52, v37, v46
	v_sub_f32_e32 v50, v46, v28
	;; [unrolled: 1-line block ×3, first 2 shown]
	v_add_f32_e32 v28, v32, v26
	v_add_f32_e32 v29, v33, v27
	;; [unrolled: 1-line block ×4, first 2 shown]
	v_mul_f32_e32 v34, 0x3f4a47b2, v50
	v_mul_f32_e32 v38, 0x3f4a47b2, v51
	;; [unrolled: 1-line block ×6, first 2 shown]
	s_mov_b32 s12, 0xbf5ff5aa
	v_mov_b32_e32 v49, v28
	v_mov_b32_e32 v51, v29
	s_mov_b32 s13, 0x3f3bfb3b
	v_mul_f32_e32 v32, 0xbf5ff5aa, v24
	v_mul_f32_e32 v33, 0xbf5ff5aa, v25
	v_fmac_f32_e32 v49, 0xbf955555, v26
	v_fmac_f32_e32 v51, 0xbf955555, v27
	v_fma_f32 v26, v52, s13, -v35
	v_fma_f32 v27, v53, s13, -v48
	s_mov_b32 s13, 0xbf3bfb3b
	v_fma_f32 v56, v24, s12, -v50
	v_fma_f32 v24, v25, s12, -v37
	s_mov_b32 s12, 0x3eae86e6
	v_fma_f32 v54, v52, s13, -v34
	v_fma_f32 v55, v53, s13, -v38
	;; [unrolled: 1-line block ×4, first 2 shown]
	v_add_f32_e32 v25, v26, v49
	v_add_f32_e32 v26, v27, v51
	;; [unrolled: 1-line block ×4, first 2 shown]
	v_fmac_f32_e32 v56, 0xbee1c552, v46
	v_fmac_f32_e32 v24, 0xbee1c552, v47
	;; [unrolled: 1-line block ×4, first 2 shown]
	v_sub_f32_e32 v32, v25, v24
	v_add_f32_e32 v33, v56, v26
	v_add_f32_e32 v24, v24, v25
	v_sub_f32_e32 v25, v26, v56
	v_sub_f32_e32 v26, v54, v53
	v_add_f32_e32 v27, v52, v55
	s_barrier
	s_and_saveexec_b64 s[12:13], s[0:1]
	s_cbranch_execz .LBB0_17
; %bb.16:
	v_mul_f32_e32 v30, 0xbeae86e6, v30
	v_mul_f32_e32 v46, 0xbee1c552, v46
	v_add_f32_e32 v30, v50, v30
	v_add_f32_e32 v46, v46, v30
	;; [unrolled: 1-line block ×3, first 2 shown]
	v_mul_f32_e32 v56, 0xbeae86e6, v31
	v_add_f32_e32 v38, v30, v51
	v_add_f32_e32 v30, v35, v34
	v_mul_f32_e32 v47, 0xbee1c552, v47
	v_add_f32_e32 v48, v30, v49
	v_add_f32_e32 v30, v37, v56
	;; [unrolled: 1-line block ×4, first 2 shown]
	v_sub_f32_e32 v30, v48, v37
	v_sub_f32_e32 v38, v38, v46
	v_add_f32_e32 v37, v48, v37
	v_lshlrev_b32_e32 v42, 3, v42
	v_sub_f32_e32 v35, v55, v52
	v_add_f32_e32 v34, v53, v54
	ds_write2_b64 v42, v[28:29], v[37:38] offset1:1
	ds_write2_b64 v42, v[34:35], v[32:33] offset0:2 offset1:3
	ds_write2_b64 v42, v[24:25], v[26:27] offset0:4 offset1:5
	ds_write_b64 v42, v[30:31] offset:48
.LBB0_17:
	s_or_b64 exec, exec, s[12:13]
	s_waitcnt lgkmcnt(0)
	s_barrier
	ds_read2_b64 v[28:31], v40 offset1:175
	ds_read_b64 v[34:35], v40 offset:2800
	s_and_saveexec_b64 s[12:13], s[2:3]
	s_cbranch_execz .LBB0_19
; %bb.18:
	v_add_u32_e32 v24, 0x800, v40
	ds_read_b64 v[32:33], v40 offset:840
	ds_read2_b64 v[24:27], v24 offset0:24 offset1:199
.LBB0_19:
	s_or_b64 exec, exec, s[12:13]
	s_waitcnt lgkmcnt(1)
	v_mul_f32_e32 v37, v5, v31
	v_mul_f32_e32 v5, v5, v30
	v_fmac_f32_e32 v37, v4, v30
	v_fma_f32 v30, v4, v31, -v5
	s_waitcnt lgkmcnt(0)
	v_mul_f32_e32 v31, v7, v35
	v_fmac_f32_e32 v31, v6, v34
	v_mul_f32_e32 v4, v7, v34
	v_add_f32_e32 v5, v37, v31
	v_fma_f32 v7, v6, v35, -v4
	v_fma_f32 v6, -0.5, v5, v28
	v_add_f32_e32 v4, v28, v37
	v_sub_f32_e32 v5, v30, v7
	v_mov_b32_e32 v28, v6
	v_fmac_f32_e32 v28, 0xbf5db3d7, v5
	v_fmac_f32_e32 v6, 0x3f5db3d7, v5
	v_add_f32_e32 v5, v29, v30
	v_add_f32_e32 v5, v5, v7
	;; [unrolled: 1-line block ×3, first 2 shown]
	v_fma_f32 v7, -0.5, v7, v29
	v_sub_f32_e32 v30, v37, v31
	v_mov_b32_e32 v29, v7
	v_add_f32_e32 v4, v4, v31
	v_fmac_f32_e32 v29, 0x3f5db3d7, v30
	v_fmac_f32_e32 v7, 0xbf5db3d7, v30
	s_barrier
	ds_write2_b64 v43, v[4:5], v[28:29] offset1:7
	ds_write_b64 v43, v[6:7] offset:112
	s_and_saveexec_b64 s[12:13], s[2:3]
	s_cbranch_execz .LBB0_21
; %bb.20:
	v_mul_f32_e32 v4, v1, v25
	v_mul_f32_e32 v1, v1, v24
	v_fmac_f32_e32 v4, v0, v24
	v_fma_f32 v7, v0, v25, -v1
	v_mul_f32_e32 v0, v3, v26
	v_mul_f32_e32 v6, v3, v27
	v_fma_f32 v24, v2, v27, -v0
	v_fmac_f32_e32 v6, v2, v26
	v_add_f32_e32 v0, v24, v7
	v_fma_f32 v1, -0.5, v0, v33
	v_add_f32_e32 v0, v6, v4
	v_sub_f32_e32 v5, v4, v6
	v_mov_b32_e32 v3, v1
	v_fma_f32 v0, -0.5, v0, v32
	v_fmac_f32_e32 v3, 0x3f5db3d7, v5
	v_sub_f32_e32 v25, v7, v24
	v_mov_b32_e32 v2, v0
	v_fmac_f32_e32 v1, 0xbf5db3d7, v5
	v_add_f32_e32 v5, v33, v7
	v_add_f32_e32 v4, v32, v4
	v_fmac_f32_e32 v2, 0xbf5db3d7, v25
	v_add_f32_e32 v5, v24, v5
	v_add_f32_e32 v4, v6, v4
	v_add_lshl_u32 v6, v44, v41, 3
	v_fmac_f32_e32 v0, 0x3f5db3d7, v25
	ds_write2_b64 v6, v[4:5], v[2:3] offset1:7
	ds_write_b64 v6, v[0:1] offset:112
.LBB0_21:
	s_or_b64 exec, exec, s[12:13]
	s_waitcnt lgkmcnt(0)
	s_barrier
	ds_read2_b64 v[1:4], v40 offset0:105 offset1:210
	ds_read_b64 v[5:6], v40
	v_add_u32_e32 v0, 0x800, v40
	ds_read2_b64 v[24:27], v0 offset0:59 offset1:164
	s_waitcnt lgkmcnt(0)
	v_mul_f32_e32 v28, v13, v2
	v_fmac_f32_e32 v28, v12, v1
	v_mul_f32_e32 v1, v13, v1
	v_fma_f32 v12, v12, v2, -v1
	v_mul_f32_e32 v13, v15, v4
	v_mul_f32_e32 v1, v15, v3
	;; [unrolled: 1-line block ×3, first 2 shown]
	v_fmac_f32_e32 v13, v14, v3
	v_fma_f32 v14, v14, v4, -v1
	v_fmac_f32_e32 v15, v8, v24
	v_mul_f32_e32 v1, v9, v24
	v_fma_f32 v24, v8, v25, -v1
	v_mul_f32_e32 v1, v11, v26
	v_add_f32_e32 v2, v13, v15
	v_mul_f32_e32 v8, v11, v27
	v_fma_f32 v11, v10, v27, -v1
	v_fma_f32 v3, -0.5, v2, v5
	v_fmac_f32_e32 v8, v10, v26
	v_sub_f32_e32 v2, v12, v11
	v_mov_b32_e32 v7, v3
	v_fmac_f32_e32 v7, 0xbf737871, v2
	v_sub_f32_e32 v4, v14, v24
	v_sub_f32_e32 v9, v28, v13
	;; [unrolled: 1-line block ×3, first 2 shown]
	v_fmac_f32_e32 v3, 0x3f737871, v2
	v_fmac_f32_e32 v7, 0xbf167918, v4
	v_add_f32_e32 v9, v9, v10
	v_fmac_f32_e32 v3, 0x3f167918, v4
	v_fmac_f32_e32 v7, 0x3e9e377a, v9
	;; [unrolled: 1-line block ×3, first 2 shown]
	v_add_f32_e32 v9, v28, v8
	v_add_f32_e32 v1, v5, v28
	v_fma_f32 v5, -0.5, v9, v5
	v_mov_b32_e32 v9, v5
	v_add_f32_e32 v1, v1, v13
	v_fmac_f32_e32 v9, 0x3f737871, v4
	v_fmac_f32_e32 v5, 0xbf737871, v4
	v_add_f32_e32 v4, v14, v24
	v_add_f32_e32 v1, v1, v15
	v_sub_f32_e32 v10, v13, v28
	v_sub_f32_e32 v25, v15, v8
	v_fma_f32 v4, -0.5, v4, v6
	v_add_f32_e32 v1, v1, v8
	v_fmac_f32_e32 v9, 0xbf167918, v2
	v_add_f32_e32 v10, v10, v25
	v_fmac_f32_e32 v5, 0x3f167918, v2
	v_sub_f32_e32 v25, v28, v8
	v_mov_b32_e32 v8, v4
	v_fmac_f32_e32 v9, 0x3e9e377a, v10
	v_fmac_f32_e32 v5, 0x3e9e377a, v10
	;; [unrolled: 1-line block ×3, first 2 shown]
	v_sub_f32_e32 v13, v13, v15
	v_sub_f32_e32 v10, v12, v14
	;; [unrolled: 1-line block ×3, first 2 shown]
	v_fmac_f32_e32 v4, 0xbf737871, v25
	v_fmac_f32_e32 v8, 0x3f167918, v13
	v_add_f32_e32 v10, v10, v15
	v_fmac_f32_e32 v4, 0xbf167918, v13
	v_add_f32_e32 v2, v6, v12
	v_fmac_f32_e32 v8, 0x3e9e377a, v10
	v_fmac_f32_e32 v4, 0x3e9e377a, v10
	v_add_f32_e32 v10, v12, v11
	v_add_f32_e32 v2, v2, v14
	v_fmac_f32_e32 v6, -0.5, v10
	v_add_f32_e32 v2, v2, v24
	v_mov_b32_e32 v10, v6
	v_add_f32_e32 v2, v2, v11
	v_fmac_f32_e32 v10, 0xbf737871, v13
	v_sub_f32_e32 v12, v14, v12
	v_sub_f32_e32 v11, v24, v11
	v_fmac_f32_e32 v6, 0x3f737871, v13
	v_fmac_f32_e32 v10, 0x3f167918, v25
	v_add_f32_e32 v11, v12, v11
	v_fmac_f32_e32 v6, 0xbf167918, v25
	v_fmac_f32_e32 v10, 0x3e9e377a, v11
	v_fmac_f32_e32 v6, 0x3e9e377a, v11
	s_barrier
	ds_write2_b64 v45, v[1:2], v[7:8] offset1:21
	ds_write2_b64 v45, v[9:10], v[5:6] offset0:42 offset1:63
	ds_write_b64 v45, v[3:4] offset:672
	s_waitcnt lgkmcnt(0)
	s_barrier
	ds_read2_b64 v[1:4], v40 offset0:105 offset1:210
	ds_read_b64 v[9:10], v40
	ds_read2_b64 v[5:8], v0 offset0:59 offset1:164
	s_waitcnt lgkmcnt(2)
	v_mul_f32_e32 v11, v21, v2
	v_fmac_f32_e32 v11, v20, v1
	v_mul_f32_e32 v1, v21, v1
	v_fma_f32 v12, v20, v2, -v1
	v_mul_f32_e32 v13, v23, v4
	v_mul_f32_e32 v1, v23, v3
	s_waitcnt lgkmcnt(0)
	v_mul_f32_e32 v15, v17, v6
	v_fmac_f32_e32 v13, v22, v3
	v_fma_f32 v14, v22, v4, -v1
	v_fmac_f32_e32 v15, v16, v5
	v_mul_f32_e32 v1, v17, v5
	v_fma_f32 v16, v16, v6, -v1
	v_mul_f32_e32 v1, v19, v7
	v_add_f32_e32 v2, v13, v15
	v_mul_f32_e32 v6, v19, v8
	v_fma_f32 v17, v18, v8, -v1
	v_fma_f32 v3, -0.5, v2, v9
	v_fmac_f32_e32 v6, v18, v7
	v_sub_f32_e32 v2, v12, v17
	v_mov_b32_e32 v5, v3
	v_fmac_f32_e32 v5, 0xbf737871, v2
	v_sub_f32_e32 v4, v14, v16
	v_sub_f32_e32 v7, v11, v13
	;; [unrolled: 1-line block ×3, first 2 shown]
	v_fmac_f32_e32 v3, 0x3f737871, v2
	v_fmac_f32_e32 v5, 0xbf167918, v4
	v_add_f32_e32 v7, v7, v8
	v_fmac_f32_e32 v3, 0x3f167918, v4
	v_fmac_f32_e32 v5, 0x3e9e377a, v7
	;; [unrolled: 1-line block ×3, first 2 shown]
	v_add_f32_e32 v7, v11, v6
	v_add_f32_e32 v1, v9, v11
	v_fma_f32 v9, -0.5, v7, v9
	v_mov_b32_e32 v7, v9
	v_add_f32_e32 v1, v1, v13
	v_fmac_f32_e32 v7, 0x3f737871, v4
	v_fmac_f32_e32 v9, 0xbf737871, v4
	v_add_f32_e32 v4, v14, v16
	v_add_f32_e32 v1, v1, v15
	v_sub_f32_e32 v8, v13, v11
	v_sub_f32_e32 v18, v15, v6
	v_fma_f32 v4, -0.5, v4, v10
	v_add_f32_e32 v1, v1, v6
	v_fmac_f32_e32 v7, 0xbf167918, v2
	v_add_f32_e32 v8, v8, v18
	v_fmac_f32_e32 v9, 0x3f167918, v2
	v_sub_f32_e32 v11, v11, v6
	v_mov_b32_e32 v6, v4
	v_fmac_f32_e32 v7, 0x3e9e377a, v8
	v_fmac_f32_e32 v9, 0x3e9e377a, v8
	;; [unrolled: 1-line block ×3, first 2 shown]
	v_sub_f32_e32 v13, v13, v15
	v_sub_f32_e32 v8, v12, v14
	;; [unrolled: 1-line block ×3, first 2 shown]
	v_fmac_f32_e32 v4, 0xbf737871, v11
	v_fmac_f32_e32 v6, 0x3f167918, v13
	v_add_f32_e32 v8, v8, v15
	v_fmac_f32_e32 v4, 0xbf167918, v13
	v_fmac_f32_e32 v6, 0x3e9e377a, v8
	;; [unrolled: 1-line block ×3, first 2 shown]
	v_add_f32_e32 v8, v12, v17
	v_add_f32_e32 v2, v10, v12
	v_fmac_f32_e32 v10, -0.5, v8
	v_add_f32_e32 v2, v2, v14
	v_mov_b32_e32 v8, v10
	v_add_f32_e32 v2, v2, v16
	v_fmac_f32_e32 v8, 0xbf737871, v13
	v_sub_f32_e32 v12, v14, v12
	v_sub_f32_e32 v14, v16, v17
	v_fmac_f32_e32 v10, 0x3f737871, v13
	v_add_f32_e32 v2, v2, v17
	v_fmac_f32_e32 v8, 0x3f167918, v11
	v_add_f32_e32 v12, v12, v14
	v_fmac_f32_e32 v10, 0xbf167918, v11
	v_fmac_f32_e32 v8, 0x3e9e377a, v12
	;; [unrolled: 1-line block ×3, first 2 shown]
	ds_write_b64 v40, v[1:2]
	ds_write_b64 v40, v[5:6] offset:840
	v_add_u32_e32 v1, 0x400, v40
	ds_write2_b64 v1, v[7:8], v[9:10] offset0:82 offset1:187
	ds_write_b64 v40, v[3:4] offset:3360
	s_waitcnt lgkmcnt(0)
	s_barrier
	s_and_b64 exec, exec, s[0:1]
	s_cbranch_execz .LBB0_23
; %bb.22:
	global_load_dwordx2 v[10:11], v40, s[10:11]
	global_load_dwordx2 v[12:13], v40, s[10:11] offset:600
	global_load_dwordx2 v[14:15], v40, s[10:11] offset:1200
	;; [unrolled: 1-line block ×4, first 2 shown]
	ds_read_b64 v[20:21], v40
	ds_read2_b64 v[2:5], v40 offset0:75 offset1:150
	ds_read2_b64 v[6:9], v1 offset0:97 offset1:172
	global_load_dwordx2 v[26:27], v40, s[10:11] offset:3000
	global_load_dwordx2 v[28:29], v40, s[10:11] offset:3600
	v_mad_u64_u32 v[22:23], s[0:1], s6, v36, 0
	v_mad_u64_u32 v[24:25], s[2:3], s4, v39, 0
	s_mul_i32 s2, s5, 0x258
	s_mul_hi_u32 s3, s4, 0x258
	v_mov_b32_e32 v1, v23
	s_add_i32 s6, s3, s2
	s_waitcnt lgkmcnt(1)
	v_mad_u64_u32 v[30:31], s[2:3], s7, v36, v[1:2]
	v_mov_b32_e32 v23, v25
	v_mad_u64_u32 v[31:32], s[2:3], s5, v39, v[23:24]
	v_mov_b32_e32 v23, v30
	v_lshlrev_b64 v[22:23], 3, v[22:23]
	v_mov_b32_e32 v25, v31
	v_mov_b32_e32 v33, s9
	v_lshlrev_b64 v[24:25], 3, v[24:25]
	v_add_co_u32_e32 v22, vcc, s8, v22
	v_addc_co_u32_e32 v23, vcc, v33, v23, vcc
	v_add_co_u32_e32 v22, vcc, v22, v24
	s_mulk_i32 s4, 0x258
	v_addc_co_u32_e32 v23, vcc, v23, v25, vcc
	v_mov_b32_e32 v34, s6
	v_add_co_u32_e32 v24, vcc, s4, v22
	v_addc_co_u32_e32 v25, vcc, v23, v34, vcc
	v_mov_b32_e32 v1, s6
	v_add_co_u32_e32 v30, vcc, s4, v24
	v_addc_co_u32_e32 v31, vcc, v25, v1, vcc
	s_mov_b32 s0, 0x859b8cec
	s_mov_b32 s1, 0x3f5f3526
	v_mov_b32_e32 v32, s6
	s_waitcnt vmcnt(6)
	v_mul_f32_e32 v1, v21, v11
	v_mul_f32_e32 v11, v20, v11
	s_waitcnt vmcnt(5)
	v_mul_f32_e32 v33, v3, v13
	v_mul_f32_e32 v13, v2, v13
	s_waitcnt vmcnt(4)
	v_mul_f32_e32 v34, v5, v15
	v_fmac_f32_e32 v1, v20, v10
	v_fma_f32 v10, v10, v21, -v11
	v_mul_f32_e32 v15, v4, v15
	s_waitcnt vmcnt(3) lgkmcnt(0)
	v_mul_f32_e32 v35, v7, v17
	v_mul_f32_e32 v17, v6, v17
	s_waitcnt vmcnt(2)
	v_mul_f32_e32 v36, v9, v19
	v_fmac_f32_e32 v33, v2, v12
	v_fma_f32 v11, v12, v3, -v13
	v_fmac_f32_e32 v34, v4, v14
	v_cvt_f64_f32_e32 v[1:2], v1
	v_cvt_f64_f32_e32 v[3:4], v10
	v_mul_f32_e32 v19, v8, v19
	v_fma_f32 v12, v14, v5, -v15
	v_fmac_f32_e32 v35, v6, v16
	v_fma_f32 v15, v16, v7, -v17
	v_fmac_f32_e32 v36, v8, v18
	v_cvt_f64_f32_e32 v[5:6], v33
	v_cvt_f64_f32_e32 v[7:8], v11
	v_fma_f32 v19, v18, v9, -v19
	v_cvt_f64_f32_e32 v[9:10], v34
	v_cvt_f64_f32_e32 v[11:12], v12
	v_mul_f64 v[1:2], v[1:2], s[0:1]
	v_mul_f64 v[3:4], v[3:4], s[0:1]
	;; [unrolled: 1-line block ×6, first 2 shown]
	v_cvt_f64_f32_e32 v[13:14], v35
	v_cvt_f64_f32_e32 v[15:16], v15
	v_cvt_f32_f64_e32 v1, v[1:2]
	v_cvt_f32_f64_e32 v2, v[3:4]
	v_cvt_f64_f32_e32 v[17:18], v36
	v_cvt_f64_f32_e32 v[19:20], v19
	v_mul_f64 v[13:14], v[13:14], s[0:1]
	v_mul_f64 v[15:16], v[15:16], s[0:1]
	v_cvt_f32_f64_e32 v3, v[5:6]
	v_cvt_f32_f64_e32 v4, v[7:8]
	;; [unrolled: 1-line block ×4, first 2 shown]
	global_store_dwordx2 v[22:23], v[1:2], off
	global_store_dwordx2 v[24:25], v[3:4], off
	;; [unrolled: 1-line block ×3, first 2 shown]
	v_mul_f64 v[4:5], v[17:18], s[0:1]
	v_mul_f64 v[9:10], v[19:20], s[0:1]
	ds_read2_b64 v[0:3], v0 offset0:119 offset1:194
	v_cvt_f32_f64_e32 v7, v[13:14]
	v_cvt_f32_f64_e32 v8, v[15:16]
	v_add_co_u32_e32 v11, vcc, s4, v30
	s_waitcnt vmcnt(4) lgkmcnt(0)
	v_mul_f32_e32 v6, v1, v27
	v_fmac_f32_e32 v6, v0, v26
	v_mul_f32_e32 v0, v0, v27
	v_addc_co_u32_e32 v12, vcc, v31, v32, vcc
	v_fma_f32 v0, v26, v1, -v0
	global_store_dwordx2 v[11:12], v[7:8], off
	v_cvt_f32_f64_e32 v4, v[4:5]
	v_cvt_f32_f64_e32 v5, v[9:10]
	v_cvt_f64_f32_e32 v[6:7], v6
	v_cvt_f64_f32_e32 v[0:1], v0
	v_mov_b32_e32 v9, s6
	v_add_co_u32_e32 v8, vcc, s4, v11
	v_addc_co_u32_e32 v9, vcc, v12, v9, vcc
	global_store_dwordx2 v[8:9], v[4:5], off
	v_mul_f64 v[4:5], v[6:7], s[0:1]
	v_mul_f64 v[0:1], v[0:1], s[0:1]
	s_waitcnt vmcnt(5)
	v_mul_f32_e32 v6, v3, v29
	v_fmac_f32_e32 v6, v2, v28
	v_mul_f32_e32 v2, v2, v29
	v_fma_f32 v2, v28, v3, -v2
	v_cvt_f64_f32_e32 v[6:7], v6
	v_cvt_f64_f32_e32 v[2:3], v2
	v_cvt_f32_f64_e32 v4, v[4:5]
	v_cvt_f32_f64_e32 v5, v[0:1]
	v_mul_f64 v[0:1], v[6:7], s[0:1]
	v_mul_f64 v[2:3], v[2:3], s[0:1]
	v_mov_b32_e32 v7, s6
	v_add_co_u32_e32 v6, vcc, s4, v8
	v_addc_co_u32_e32 v7, vcc, v9, v7, vcc
	global_store_dwordx2 v[6:7], v[4:5], off
	v_cvt_f32_f64_e32 v0, v[0:1]
	v_cvt_f32_f64_e32 v1, v[2:3]
	v_mov_b32_e32 v3, s6
	v_add_co_u32_e32 v2, vcc, s4, v6
	v_addc_co_u32_e32 v3, vcc, v7, v3, vcc
	global_store_dwordx2 v[2:3], v[0:1], off
.LBB0_23:
	s_endpgm
	.section	.rodata,"a",@progbits
	.p2align	6, 0x0
	.amdhsa_kernel bluestein_single_back_len525_dim1_sp_op_CI_CI
		.amdhsa_group_segment_fixed_size 4200
		.amdhsa_private_segment_fixed_size 0
		.amdhsa_kernarg_size 104
		.amdhsa_user_sgpr_count 6
		.amdhsa_user_sgpr_private_segment_buffer 1
		.amdhsa_user_sgpr_dispatch_ptr 0
		.amdhsa_user_sgpr_queue_ptr 0
		.amdhsa_user_sgpr_kernarg_segment_ptr 1
		.amdhsa_user_sgpr_dispatch_id 0
		.amdhsa_user_sgpr_flat_scratch_init 0
		.amdhsa_user_sgpr_private_segment_size 0
		.amdhsa_uses_dynamic_stack 0
		.amdhsa_system_sgpr_private_segment_wavefront_offset 0
		.amdhsa_system_sgpr_workgroup_id_x 1
		.amdhsa_system_sgpr_workgroup_id_y 0
		.amdhsa_system_sgpr_workgroup_id_z 0
		.amdhsa_system_sgpr_workgroup_info 0
		.amdhsa_system_vgpr_workitem_id 0
		.amdhsa_next_free_vgpr 64
		.amdhsa_next_free_sgpr 18
		.amdhsa_reserve_vcc 1
		.amdhsa_reserve_flat_scratch 0
		.amdhsa_float_round_mode_32 0
		.amdhsa_float_round_mode_16_64 0
		.amdhsa_float_denorm_mode_32 3
		.amdhsa_float_denorm_mode_16_64 3
		.amdhsa_dx10_clamp 1
		.amdhsa_ieee_mode 1
		.amdhsa_fp16_overflow 0
		.amdhsa_exception_fp_ieee_invalid_op 0
		.amdhsa_exception_fp_denorm_src 0
		.amdhsa_exception_fp_ieee_div_zero 0
		.amdhsa_exception_fp_ieee_overflow 0
		.amdhsa_exception_fp_ieee_underflow 0
		.amdhsa_exception_fp_ieee_inexact 0
		.amdhsa_exception_int_div_zero 0
	.end_amdhsa_kernel
	.text
.Lfunc_end0:
	.size	bluestein_single_back_len525_dim1_sp_op_CI_CI, .Lfunc_end0-bluestein_single_back_len525_dim1_sp_op_CI_CI
                                        ; -- End function
	.section	.AMDGPU.csdata,"",@progbits
; Kernel info:
; codeLenInByte = 6080
; NumSgprs: 22
; NumVgprs: 64
; ScratchSize: 0
; MemoryBound: 0
; FloatMode: 240
; IeeeMode: 1
; LDSByteSize: 4200 bytes/workgroup (compile time only)
; SGPRBlocks: 2
; VGPRBlocks: 15
; NumSGPRsForWavesPerEU: 22
; NumVGPRsForWavesPerEU: 64
; Occupancy: 4
; WaveLimiterHint : 1
; COMPUTE_PGM_RSRC2:SCRATCH_EN: 0
; COMPUTE_PGM_RSRC2:USER_SGPR: 6
; COMPUTE_PGM_RSRC2:TRAP_HANDLER: 0
; COMPUTE_PGM_RSRC2:TGID_X_EN: 1
; COMPUTE_PGM_RSRC2:TGID_Y_EN: 0
; COMPUTE_PGM_RSRC2:TGID_Z_EN: 0
; COMPUTE_PGM_RSRC2:TIDIG_COMP_CNT: 0
	.type	__hip_cuid_b909c5ab50053ff3,@object ; @__hip_cuid_b909c5ab50053ff3
	.section	.bss,"aw",@nobits
	.globl	__hip_cuid_b909c5ab50053ff3
__hip_cuid_b909c5ab50053ff3:
	.byte	0                               ; 0x0
	.size	__hip_cuid_b909c5ab50053ff3, 1

	.ident	"AMD clang version 19.0.0git (https://github.com/RadeonOpenCompute/llvm-project roc-6.4.0 25133 c7fe45cf4b819c5991fe208aaa96edf142730f1d)"
	.section	".note.GNU-stack","",@progbits
	.addrsig
	.addrsig_sym __hip_cuid_b909c5ab50053ff3
	.amdgpu_metadata
---
amdhsa.kernels:
  - .args:
      - .actual_access:  read_only
        .address_space:  global
        .offset:         0
        .size:           8
        .value_kind:     global_buffer
      - .actual_access:  read_only
        .address_space:  global
        .offset:         8
        .size:           8
        .value_kind:     global_buffer
      - .actual_access:  read_only
        .address_space:  global
        .offset:         16
        .size:           8
        .value_kind:     global_buffer
      - .actual_access:  read_only
        .address_space:  global
        .offset:         24
        .size:           8
        .value_kind:     global_buffer
      - .actual_access:  read_only
        .address_space:  global
        .offset:         32
        .size:           8
        .value_kind:     global_buffer
      - .offset:         40
        .size:           8
        .value_kind:     by_value
      - .address_space:  global
        .offset:         48
        .size:           8
        .value_kind:     global_buffer
      - .address_space:  global
        .offset:         56
        .size:           8
        .value_kind:     global_buffer
      - .address_space:  global
        .offset:         64
        .size:           8
        .value_kind:     global_buffer
      - .address_space:  global
        .offset:         72
        .size:           8
        .value_kind:     global_buffer
      - .offset:         80
        .size:           4
        .value_kind:     by_value
      - .address_space:  global
        .offset:         88
        .size:           8
        .value_kind:     global_buffer
      - .address_space:  global
        .offset:         96
        .size:           8
        .value_kind:     global_buffer
    .group_segment_fixed_size: 4200
    .kernarg_segment_align: 8
    .kernarg_segment_size: 104
    .language:       OpenCL C
    .language_version:
      - 2
      - 0
    .max_flat_workgroup_size: 105
    .name:           bluestein_single_back_len525_dim1_sp_op_CI_CI
    .private_segment_fixed_size: 0
    .sgpr_count:     22
    .sgpr_spill_count: 0
    .symbol:         bluestein_single_back_len525_dim1_sp_op_CI_CI.kd
    .uniform_work_group_size: 1
    .uses_dynamic_stack: false
    .vgpr_count:     64
    .vgpr_spill_count: 0
    .wavefront_size: 64
amdhsa.target:   amdgcn-amd-amdhsa--gfx906
amdhsa.version:
  - 1
  - 2
...

	.end_amdgpu_metadata
